;; amdgpu-corpus repo=ROCm/bitsandbytes kind=harvested arch=n/a opt=n/a
	.text
	.amdgcn_target "amdgcn-amd-amdhsa--gfx942"
	.amdhsa_code_object_version 6
	.protected	_Z19kPercentileClippingIfLi2048ELi4EEvPT_Pfii ; -- Begin function _Z19kPercentileClippingIfLi2048ELi4EEvPT_Pfii
	.globl	_Z19kPercentileClippingIfLi2048ELi4EEvPT_Pfii
	.p2align	8
	.type	_Z19kPercentileClippingIfLi2048ELi4EEvPT_Pfii,@function
_Z19kPercentileClippingIfLi2048ELi4EEvPT_Pfii: ; @_Z19kPercentileClippingIfLi2048ELi4EEvPT_Pfii
; %bb.0:
	s_load_dwordx2 s[16:17], s[0:1], 0x10
	s_mov_b32 s9, 0
	s_waitcnt lgkmcnt(0)
	s_ashr_i32 s3, s17, 31
	s_lshr_b32 s3, s3, 21
	s_add_i32 s3, s17, s3
	s_and_b32 s4, s17, 0x7ff
	s_and_b32 s3, s3, 0xfffff800
	s_cmp_lg_u32 s4, 0
	s_cselect_b64 s[4:5], -1, 0
	v_cndmask_b32_e64 v1, 0, 1, s[4:5]
	s_lshl_b32 s18, s2, 11
	v_readfirstlane_b32 s4, v1
	s_lshl_b32 s24, s4, 11
	s_add_i32 s24, s24, s3
	s_cmp_ge_u32 s18, s24
	s_cbranch_scc1 .LBB94_125
; %bb.1:
	s_load_dwordx4 s[12:15], s[0:1], 0x0
	s_load_dword s8, s[0:1], 0x18
	v_mbcnt_lo_u32_b32 v1, -1, 0
	v_mbcnt_hi_u32_b32 v1, -1, v1
	v_lshlrev_b32_e32 v2, 2, v0
	v_and_b32_e32 v10, 0xf00, v2
	v_lshlrev_b32_e32 v2, 2, v1
	v_mov_b32_e32 v3, 0
	s_waitcnt lgkmcnt(0)
	v_lshl_add_u64 v[4:5], s[12:13], 0, v[2:3]
	v_lshlrev_b32_e32 v6, 2, v10
	v_mov_b32_e32 v7, v3
	v_or_b32_e32 v10, v1, v10
	v_lshl_add_u64 v[8:9], v[4:5], 0, v[6:7]
	v_add_u32_e32 v11, 64, v10
	v_lshrrev_b32_e32 v4, 5, v10
	v_or_b32_e32 v12, 0x80, v10
	v_add_lshl_u32 v14, v4, v10, 2
	v_lshrrev_b32_e32 v4, 5, v11
	v_add_u32_e32 v13, 0xc0, v10
	v_add_lshl_u32 v15, v4, v11, 2
	v_lshrrev_b32_e32 v4, 5, v12
	v_add_lshl_u32 v16, v4, v12, 2
	v_lshrrev_b32_e32 v4, 5, v13
	v_and_b32_e32 v18, 0x3c0, v0
	v_add_lshl_u32 v17, v4, v13, 2
	v_add_u32_e32 v4, v1, v18
	v_lshlrev_b32_e32 v5, 2, v4
	v_bfe_u32 v4, v4, 3, 27
	v_add_lshl_u32 v19, v4, v5, 2
	v_and_b32_e32 v4, 63, v1
	v_cmp_ne_u32_e32 vcc, 63, v4
	s_cmp_lg_u32 s16, 1
	s_mul_hi_i32 s6, s16, 0x51eb851f
	v_addc_co_u32_e32 v5, vcc, 0, v1, vcc
	v_cmp_gt_u32_e32 vcc, 62, v4
	v_lshlrev_b32_e32 v20, 2, v5
	s_cselect_b64 s[12:13], -1, 0
	v_cndmask_b32_e64 v5, 0, 1, vcc
	v_lshlrev_b32_e32 v5, 1, v5
	v_cmp_gt_u32_e32 vcc, 60, v4
	v_add_lshl_u32 v22, v5, v1, 2
	s_lshr_b32 s7, s6, 31
	v_cndmask_b32_e64 v5, 0, 1, vcc
	v_lshlrev_b32_e32 v5, 2, v5
	v_cmp_gt_u32_e32 vcc, 56, v4
	v_add_lshl_u32 v24, v5, v1, 2
	s_ashr_i32 s6, s6, 5
	v_cndmask_b32_e64 v5, 0, 1, vcc
	v_lshlrev_b32_e32 v5, 3, v5
	v_cmp_gt_u32_e32 vcc, 48, v4
	v_add_lshl_u32 v26, v5, v1, 2
	s_add_i32 s6, s6, s7
	v_cndmask_b32_e64 v5, 0, 1, vcc
	v_cmp_gt_u32_e32 vcc, 32, v4
	v_lshlrev_b32_e32 v5, 4, v5
	v_add_lshl_u32 v28, v5, v1, 2
	v_cndmask_b32_e64 v4, 0, 1, vcc
	v_lshlrev_b32_e32 v4, 5, v4
	v_add_lshl_u32 v30, v4, v1, 2
	v_lshrrev_b32_e32 v4, 4, v0
	v_mov_b32_e32 v5, 0x2100
	v_and_or_b32 v32, v4, 60, v5
	v_and_b32_e32 v4, 7, v1
	v_cmp_ne_u32_e32 vcc, 7, v4
	s_mulk_i32 s6, 0x64
	s_sub_i32 s6, s16, s6
	v_addc_co_u32_e32 v5, vcc, 0, v1, vcc
	v_cmp_gt_u32_e32 vcc, 6, v4
	v_lshlrev_b32_e32 v34, 2, v5
	s_ashr_i32 s7, s6, 31
	v_cndmask_b32_e64 v5, 0, 1, vcc
	v_cmp_gt_u32_e32 vcc, 4, v4
	v_add_u32_e32 v33, 1, v4
	v_add_u32_e32 v35, 2, v4
	;; [unrolled: 1-line block ×3, first 2 shown]
	v_cndmask_b32_e64 v4, 0, 1, vcc
	s_lshl_b64 s[6:7], s[6:7], 2
	v_lshlrev_b32_e32 v5, 1, v5
	v_lshlrev_b32_e32 v4, 2, v4
	s_add_u32 s20, s14, s6
	v_add_u32_e32 v21, 1, v1
	v_add_u32_e32 v23, 2, v1
	;; [unrolled: 1-line block ×6, first 2 shown]
	v_cmp_eq_u32_e64 s[0:1], 0, v1
	v_cmp_gt_u32_e64 s[2:3], 8, v0
	v_add_u32_e32 v2, 0x2100, v2
	v_add_lshl_u32 v36, v5, v1, 2
	v_add_lshl_u32 v38, v4, v1, 2
	v_cmp_eq_u32_e64 s[4:5], 0, v0
	s_addc_u32 s21, s15, s7
	s_lshl_b32 s16, s8, 11
	s_branch .LBB94_3
.LBB94_2:                               ;   in Loop: Header=BB94_3 Depth=1
	s_or_b64 exec, exec, s[6:7]
	s_add_i32 s18, s16, s18
	s_cmp_ge_u32 s18, s24
	s_cbranch_scc1 .LBB94_125
.LBB94_3:                               ; =>This Loop Header: Depth=1
                                        ;     Child Loop BB94_15 Depth 2
                                        ;     Child Loop BB94_22 Depth 2
                                        ;       Child Loop BB94_23 Depth 3
                                        ;       Child Loop BB94_27 Depth 3
	;; [unrolled: 1-line block ×25, first 2 shown]
	s_sub_i32 s6, s17, s18
	s_mov_b32 s8, s9
	s_min_u32 s22, s6, 0x800
	s_mov_b32 s19, s9
	s_mov_b32 s10, s9
	;; [unrolled: 1-line block ×3, first 2 shown]
	v_mov_b64_e32 v[4:5], s[8:9]
	v_lshl_add_u64 v[0:1], s[18:19], 2, v[8:9]
	v_cmp_gt_u32_e32 vcc, s22, v10
	v_mov_b64_e32 v[6:7], s[10:11]
	v_mov_b32_e32 v39, 0
	s_barrier
	s_and_saveexec_b64 s[6:7], vcc
	s_cbranch_execnz .LBB94_122
; %bb.4:                                ;   in Loop: Header=BB94_3 Depth=1
	s_or_b64 exec, exec, s[6:7]
	v_cmp_gt_u32_e32 vcc, s22, v11
	s_and_saveexec_b64 s[6:7], vcc
	s_cbranch_execnz .LBB94_123
.LBB94_5:                               ;   in Loop: Header=BB94_3 Depth=1
	s_or_b64 exec, exec, s[6:7]
	v_cmp_gt_u32_e32 vcc, s22, v12
	s_and_saveexec_b64 s[6:7], vcc
	s_cbranch_execnz .LBB94_124
.LBB94_6:                               ;   in Loop: Header=BB94_3 Depth=1
	s_or_b64 exec, exec, s[6:7]
	v_cmp_gt_u32_e32 vcc, s22, v13
	s_and_saveexec_b64 s[6:7], vcc
	s_cbranch_execz .LBB94_8
.LBB94_7:                               ;   in Loop: Header=BB94_3 Depth=1
	global_load_dword v7, v[0:1], off offset:768
.LBB94_8:                               ;   in Loop: Header=BB94_3 Depth=1
	s_or_b64 exec, exec, s[6:7]
	s_waitcnt vmcnt(0)
	ds_write_b32 v14, v39
	ds_write_b32 v15, v5
	;; [unrolled: 1-line block ×4, first 2 shown]
	; wave barrier
	ds_read2_b32 v[0:1], v19 offset1:1
	ds_read2_b32 v[4:5], v19 offset0:2 offset1:3
	s_waitcnt lgkmcnt(1)
	v_mul_f32_e32 v1, v1, v1
	v_fmac_f32_e32 v1, v0, v0
	s_waitcnt lgkmcnt(0)
	v_fmac_f32_e32 v1, v4, v4
	v_fmac_f32_e32 v1, v5, v5
	ds_bpermute_b32 v0, v20, v1
	v_sub_u32_e64 v4, s22, v18 clamp
	v_cmp_lt_u32_e32 vcc, v21, v4
	s_waitcnt lgkmcnt(0)
	v_add_f32_e32 v0, v1, v0
	v_cndmask_b32_e32 v0, v1, v0, vcc
	ds_bpermute_b32 v1, v22, v0
	v_cmp_lt_u32_e32 vcc, v23, v4
	s_waitcnt lgkmcnt(0)
	v_add_f32_e32 v1, v0, v1
	v_cndmask_b32_e32 v0, v0, v1, vcc
	ds_bpermute_b32 v1, v24, v0
	;; [unrolled: 5-line block ×5, first 2 shown]
	v_cmp_lt_u32_e32 vcc, v31, v4
	s_waitcnt lgkmcnt(0)
	v_add_f32_e32 v1, v0, v1
	v_cndmask_b32_e32 v0, v0, v1, vcc
	s_and_saveexec_b64 s[6:7], s[0:1]
	s_cbranch_execz .LBB94_10
; %bb.9:                                ;   in Loop: Header=BB94_3 Depth=1
	ds_write_b32 v32, v0
.LBB94_10:                              ;   in Loop: Header=BB94_3 Depth=1
	s_or_b64 exec, exec, s[6:7]
	s_waitcnt lgkmcnt(0)
	s_barrier
	s_and_saveexec_b64 s[10:11], s[2:3]
	s_cbranch_execz .LBB94_12
; %bb.11:                               ;   in Loop: Header=BB94_3 Depth=1
	ds_read_b32 v0, v2
	s_add_i32 s22, s22, 63
	s_lshr_b32 s8, s22, 6
	v_cmp_gt_u32_e32 vcc, s8, v33
	v_cmp_gt_u32_e64 s[6:7], s8, v35
	s_waitcnt lgkmcnt(0)
	ds_bpermute_b32 v1, v34, v0
	s_waitcnt lgkmcnt(0)
	v_add_f32_e32 v1, v0, v1
	v_cndmask_b32_e32 v1, v0, v1, vcc
	ds_bpermute_b32 v4, v36, v1
	s_waitcnt lgkmcnt(0)
	v_add_f32_e32 v4, v1, v4
	v_cndmask_b32_e64 v1, v1, v4, s[6:7]
	ds_bpermute_b32 v4, v38, v1
	v_cmp_gt_u32_e64 s[6:7], s8, v37
	s_waitcnt lgkmcnt(0)
	v_add_f32_e32 v4, v1, v4
	v_cndmask_b32_e64 v1, v1, v4, s[6:7]
	v_cndmask_b32_e32 v0, v0, v1, vcc
.LBB94_12:                              ;   in Loop: Header=BB94_3 Depth=1
	s_or_b64 exec, exec, s[10:11]
	s_and_saveexec_b64 s[6:7], s[4:5]
	s_cbranch_execz .LBB94_2
; %bb.13:                               ;   in Loop: Header=BB94_3 Depth=1
	s_mov_b64 s[10:11], -1
	s_and_b64 vcc, exec, s[12:13]
	s_cbranch_vccz .LBB94_19
; %bb.14:                               ;   in Loop: Header=BB94_3 Depth=1
	s_mov_b64 s[10:11], exec
	v_bfrev_b32_e32 v1, 1
.LBB94_15:                              ;   Parent Loop BB94_3 Depth=1
                                        ; =>  This Inner Loop Header: Depth=2
	s_ff1_i32_b64 s8, s[10:11]
	s_lshl_b64 s[22:23], 1, s8
	v_readlane_b32 s19, v0, s8
	s_andn2_b64 s[10:11], s[10:11], s[22:23]
	s_cmp_lg_u64 s[10:11], 0
	v_add_f32_e32 v1, s19, v1
	s_cbranch_scc1 .LBB94_15
; %bb.16:                               ;   in Loop: Header=BB94_3 Depth=1
	v_mbcnt_lo_u32_b32 v4, exec_lo, 0
	v_mbcnt_hi_u32_b32 v4, exec_hi, v4
	v_cmp_eq_u32_e32 vcc, 0, v4
	s_and_saveexec_b64 s[10:11], vcc
	s_xor_b64 s[10:11], exec, s[10:11]
	s_cbranch_execz .LBB94_18
; %bb.17:                               ;   in Loop: Header=BB94_3 Depth=1
	global_atomic_add_f32 v3, v1, s[20:21]
.LBB94_18:                              ;   in Loop: Header=BB94_3 Depth=1
	s_or_b64 exec, exec, s[10:11]
	s_mov_b64 s[10:11], 0
.LBB94_19:                              ;   in Loop: Header=BB94_3 Depth=1
	s_and_b64 vcc, exec, s[10:11]
	s_cbranch_vccz .LBB94_2
; %bb.20:                               ;   in Loop: Header=BB94_3 Depth=1
	s_mov_b32 s8, 0
	s_branch .LBB94_22
.LBB94_21:                              ;   in Loop: Header=BB94_22 Depth=2
	s_or_b64 exec, exec, s[22:23]
	s_add_i32 s8, s8, 25
	s_cmpk_eq_i32 s8, 0x64
	s_cbranch_scc1 .LBB94_2
.LBB94_22:                              ;   Parent Loop BB94_3 Depth=1
                                        ; =>  This Loop Header: Depth=2
                                        ;       Child Loop BB94_23 Depth 3
                                        ;       Child Loop BB94_27 Depth 3
	;; [unrolled: 1-line block ×25, first 2 shown]
	s_mov_b64 s[10:11], exec
	v_bfrev_b32_e32 v1, 1
.LBB94_23:                              ;   Parent Loop BB94_3 Depth=1
                                        ;     Parent Loop BB94_22 Depth=2
                                        ; =>    This Inner Loop Header: Depth=3
	s_ff1_i32_b64 s19, s[10:11]
	s_lshl_b64 s[22:23], 1, s19
	v_readlane_b32 s25, v0, s19
	s_andn2_b64 s[10:11], s[10:11], s[22:23]
	s_cmp_lg_u64 s[10:11], 0
	v_add_f32_e32 v1, s25, v1
	s_cbranch_scc1 .LBB94_23
; %bb.24:                               ;   in Loop: Header=BB94_22 Depth=2
	s_lshl_b64 s[10:11], s[8:9], 2
	v_mbcnt_lo_u32_b32 v4, exec_lo, 0
	s_add_u32 s10, s14, s10
	v_mbcnt_hi_u32_b32 v4, exec_hi, v4
	s_addc_u32 s11, s15, s11
	v_cmp_eq_u32_e32 vcc, 0, v4
	s_and_saveexec_b64 s[22:23], vcc
	s_xor_b64 s[22:23], exec, s[22:23]
	s_cbranch_execz .LBB94_26
; %bb.25:                               ;   in Loop: Header=BB94_22 Depth=2
	global_atomic_add_f32 v3, v1, s[10:11]
.LBB94_26:                              ;   in Loop: Header=BB94_22 Depth=2
	s_or_b64 exec, exec, s[22:23]
	s_mov_b64 s[22:23], exec
	v_bfrev_b32_e32 v1, 1
.LBB94_27:                              ;   Parent Loop BB94_3 Depth=1
                                        ;     Parent Loop BB94_22 Depth=2
                                        ; =>    This Inner Loop Header: Depth=3
	s_ff1_i32_b64 s19, s[22:23]
	s_lshl_b64 s[26:27], 1, s19
	v_readlane_b32 s25, v0, s19
	s_andn2_b64 s[22:23], s[22:23], s[26:27]
	s_cmp_lg_u64 s[22:23], 0
	v_add_f32_e32 v1, s25, v1
	s_cbranch_scc1 .LBB94_27
; %bb.28:                               ;   in Loop: Header=BB94_22 Depth=2
	v_mbcnt_lo_u32_b32 v4, exec_lo, 0
	v_mbcnt_hi_u32_b32 v4, exec_hi, v4
	v_cmp_eq_u32_e32 vcc, 0, v4
	s_and_saveexec_b64 s[22:23], vcc
	s_xor_b64 s[22:23], exec, s[22:23]
	s_cbranch_execz .LBB94_30
; %bb.29:                               ;   in Loop: Header=BB94_22 Depth=2
	global_atomic_add_f32 v3, v1, s[10:11] offset:4
.LBB94_30:                              ;   in Loop: Header=BB94_22 Depth=2
	s_or_b64 exec, exec, s[22:23]
	s_mov_b64 s[22:23], exec
	v_bfrev_b32_e32 v1, 1
.LBB94_31:                              ;   Parent Loop BB94_3 Depth=1
                                        ;     Parent Loop BB94_22 Depth=2
                                        ; =>    This Inner Loop Header: Depth=3
	s_ff1_i32_b64 s19, s[22:23]
	s_lshl_b64 s[26:27], 1, s19
	v_readlane_b32 s25, v0, s19
	s_andn2_b64 s[22:23], s[22:23], s[26:27]
	s_cmp_lg_u64 s[22:23], 0
	v_add_f32_e32 v1, s25, v1
	s_cbranch_scc1 .LBB94_31
; %bb.32:                               ;   in Loop: Header=BB94_22 Depth=2
	v_mbcnt_lo_u32_b32 v4, exec_lo, 0
	v_mbcnt_hi_u32_b32 v4, exec_hi, v4
	v_cmp_eq_u32_e32 vcc, 0, v4
	s_and_saveexec_b64 s[22:23], vcc
	s_xor_b64 s[22:23], exec, s[22:23]
	s_cbranch_execz .LBB94_34
; %bb.33:                               ;   in Loop: Header=BB94_22 Depth=2
	global_atomic_add_f32 v3, v1, s[10:11] offset:8
.LBB94_34:                              ;   in Loop: Header=BB94_22 Depth=2
	;; [unrolled: 23-line block ×18, first 2 shown]
	s_or_b64 exec, exec, s[22:23]
	s_mov_b64 s[22:23], exec
	v_bfrev_b32_e32 v1, 1
.LBB94_99:                              ;   Parent Loop BB94_3 Depth=1
                                        ;     Parent Loop BB94_22 Depth=2
                                        ; =>    This Inner Loop Header: Depth=3
	s_ff1_i32_b64 s19, s[22:23]
	s_lshl_b64 s[26:27], 1, s19
	v_readlane_b32 s25, v0, s19
	s_andn2_b64 s[22:23], s[22:23], s[26:27]
	s_cmp_lg_u64 s[22:23], 0
	v_add_f32_e32 v1, s25, v1
	s_cbranch_scc1 .LBB94_99
; %bb.100:                              ;   in Loop: Header=BB94_22 Depth=2
	v_mbcnt_lo_u32_b32 v4, exec_lo, 0
	v_mbcnt_hi_u32_b32 v4, exec_hi, v4
	v_cmp_eq_u32_e32 vcc, 0, v4
	s_and_saveexec_b64 s[22:23], vcc
	s_xor_b64 s[22:23], exec, s[22:23]
	s_cbranch_execz .LBB94_102
; %bb.101:                              ;   in Loop: Header=BB94_22 Depth=2
	global_atomic_add_f32 v3, v1, s[10:11] offset:76
.LBB94_102:                             ;   in Loop: Header=BB94_22 Depth=2
	s_or_b64 exec, exec, s[22:23]
	s_mov_b64 s[22:23], exec
	v_bfrev_b32_e32 v1, 1
.LBB94_103:                             ;   Parent Loop BB94_3 Depth=1
                                        ;     Parent Loop BB94_22 Depth=2
                                        ; =>    This Inner Loop Header: Depth=3
	s_ff1_i32_b64 s19, s[22:23]
	s_lshl_b64 s[26:27], 1, s19
	v_readlane_b32 s25, v0, s19
	s_andn2_b64 s[22:23], s[22:23], s[26:27]
	s_cmp_lg_u64 s[22:23], 0
	v_add_f32_e32 v1, s25, v1
	s_cbranch_scc1 .LBB94_103
; %bb.104:                              ;   in Loop: Header=BB94_22 Depth=2
	v_mbcnt_lo_u32_b32 v4, exec_lo, 0
	v_mbcnt_hi_u32_b32 v4, exec_hi, v4
	v_cmp_eq_u32_e32 vcc, 0, v4
	s_and_saveexec_b64 s[22:23], vcc
	s_xor_b64 s[22:23], exec, s[22:23]
	s_cbranch_execz .LBB94_106
; %bb.105:                              ;   in Loop: Header=BB94_22 Depth=2
	global_atomic_add_f32 v3, v1, s[10:11] offset:80
.LBB94_106:                             ;   in Loop: Header=BB94_22 Depth=2
	s_or_b64 exec, exec, s[22:23]
	s_mov_b64 s[22:23], exec
	v_bfrev_b32_e32 v1, 1
.LBB94_107:                             ;   Parent Loop BB94_3 Depth=1
                                        ;     Parent Loop BB94_22 Depth=2
                                        ; =>    This Inner Loop Header: Depth=3
	s_ff1_i32_b64 s19, s[22:23]
	s_lshl_b64 s[26:27], 1, s19
	v_readlane_b32 s25, v0, s19
	s_andn2_b64 s[22:23], s[22:23], s[26:27]
	s_cmp_lg_u64 s[22:23], 0
	v_add_f32_e32 v1, s25, v1
	s_cbranch_scc1 .LBB94_107
; %bb.108:                              ;   in Loop: Header=BB94_22 Depth=2
	v_mbcnt_lo_u32_b32 v4, exec_lo, 0
	v_mbcnt_hi_u32_b32 v4, exec_hi, v4
	v_cmp_eq_u32_e32 vcc, 0, v4
	s_and_saveexec_b64 s[22:23], vcc
	s_xor_b64 s[22:23], exec, s[22:23]
	s_cbranch_execz .LBB94_110
; %bb.109:                              ;   in Loop: Header=BB94_22 Depth=2
	global_atomic_add_f32 v3, v1, s[10:11] offset:84
.LBB94_110:                             ;   in Loop: Header=BB94_22 Depth=2
	s_or_b64 exec, exec, s[22:23]
	s_mov_b64 s[22:23], exec
	v_bfrev_b32_e32 v1, 1
.LBB94_111:                             ;   Parent Loop BB94_3 Depth=1
                                        ;     Parent Loop BB94_22 Depth=2
                                        ; =>    This Inner Loop Header: Depth=3
	s_ff1_i32_b64 s19, s[22:23]
	s_lshl_b64 s[26:27], 1, s19
	v_readlane_b32 s25, v0, s19
	s_andn2_b64 s[22:23], s[22:23], s[26:27]
	s_cmp_lg_u64 s[22:23], 0
	v_add_f32_e32 v1, s25, v1
	s_cbranch_scc1 .LBB94_111
; %bb.112:                              ;   in Loop: Header=BB94_22 Depth=2
	v_mbcnt_lo_u32_b32 v4, exec_lo, 0
	v_mbcnt_hi_u32_b32 v4, exec_hi, v4
	v_cmp_eq_u32_e32 vcc, 0, v4
	s_and_saveexec_b64 s[22:23], vcc
	s_xor_b64 s[22:23], exec, s[22:23]
	s_cbranch_execz .LBB94_114
; %bb.113:                              ;   in Loop: Header=BB94_22 Depth=2
	global_atomic_add_f32 v3, v1, s[10:11] offset:88
.LBB94_114:                             ;   in Loop: Header=BB94_22 Depth=2
	s_or_b64 exec, exec, s[22:23]
	s_mov_b64 s[22:23], exec
	v_bfrev_b32_e32 v1, 1
.LBB94_115:                             ;   Parent Loop BB94_3 Depth=1
                                        ;     Parent Loop BB94_22 Depth=2
                                        ; =>    This Inner Loop Header: Depth=3
	s_ff1_i32_b64 s19, s[22:23]
	s_lshl_b64 s[26:27], 1, s19
	v_readlane_b32 s25, v0, s19
	s_andn2_b64 s[22:23], s[22:23], s[26:27]
	s_cmp_lg_u64 s[22:23], 0
	v_add_f32_e32 v1, s25, v1
	s_cbranch_scc1 .LBB94_115
; %bb.116:                              ;   in Loop: Header=BB94_22 Depth=2
	v_mbcnt_lo_u32_b32 v4, exec_lo, 0
	v_mbcnt_hi_u32_b32 v4, exec_hi, v4
	v_cmp_eq_u32_e32 vcc, 0, v4
	s_and_saveexec_b64 s[22:23], vcc
	s_xor_b64 s[22:23], exec, s[22:23]
	s_cbranch_execz .LBB94_118
; %bb.117:                              ;   in Loop: Header=BB94_22 Depth=2
	global_atomic_add_f32 v3, v1, s[10:11] offset:92
.LBB94_118:                             ;   in Loop: Header=BB94_22 Depth=2
	s_or_b64 exec, exec, s[22:23]
	s_mov_b64 s[22:23], exec
	v_bfrev_b32_e32 v1, 1
.LBB94_119:                             ;   Parent Loop BB94_3 Depth=1
                                        ;     Parent Loop BB94_22 Depth=2
                                        ; =>    This Inner Loop Header: Depth=3
	s_ff1_i32_b64 s19, s[22:23]
	s_lshl_b64 s[26:27], 1, s19
	v_readlane_b32 s25, v0, s19
	s_andn2_b64 s[22:23], s[22:23], s[26:27]
	s_cmp_lg_u64 s[22:23], 0
	v_add_f32_e32 v1, s25, v1
	s_cbranch_scc1 .LBB94_119
; %bb.120:                              ;   in Loop: Header=BB94_22 Depth=2
	v_mbcnt_lo_u32_b32 v4, exec_lo, 0
	v_mbcnt_hi_u32_b32 v4, exec_hi, v4
	v_cmp_eq_u32_e32 vcc, 0, v4
	s_and_saveexec_b64 s[22:23], vcc
	s_xor_b64 s[22:23], exec, s[22:23]
	s_cbranch_execz .LBB94_21
; %bb.121:                              ;   in Loop: Header=BB94_22 Depth=2
	global_atomic_add_f32 v3, v1, s[10:11] offset:96
	s_branch .LBB94_21
.LBB94_122:                             ;   in Loop: Header=BB94_3 Depth=1
	global_load_dword v39, v[0:1], off
	v_mov_b32_e32 v4, v3
	v_mov_b32_e32 v5, v3
	v_mov_b64_e32 v[6:7], v[4:5]
	v_mov_b64_e32 v[4:5], v[2:3]
	s_or_b64 exec, exec, s[6:7]
	v_cmp_gt_u32_e32 vcc, s22, v11
	s_and_saveexec_b64 s[6:7], vcc
	s_cbranch_execz .LBB94_5
.LBB94_123:                             ;   in Loop: Header=BB94_3 Depth=1
	global_load_dword v5, v[0:1], off offset:256
	s_or_b64 exec, exec, s[6:7]
	v_cmp_gt_u32_e32 vcc, s22, v12
	s_and_saveexec_b64 s[6:7], vcc
	s_cbranch_execz .LBB94_6
.LBB94_124:                             ;   in Loop: Header=BB94_3 Depth=1
	global_load_dword v6, v[0:1], off offset:512
	s_or_b64 exec, exec, s[6:7]
	v_cmp_gt_u32_e32 vcc, s22, v13
	s_and_saveexec_b64 s[6:7], vcc
	s_cbranch_execnz .LBB94_7
	s_branch .LBB94_8
.LBB94_125:
	s_endpgm
	.section	.rodata,"a",@progbits
	.p2align	6, 0x0
	.amdhsa_kernel _Z19kPercentileClippingIfLi2048ELi4EEvPT_Pfii
		.amdhsa_group_segment_fixed_size 8480
		.amdhsa_private_segment_fixed_size 0
		.amdhsa_kernarg_size 280
		.amdhsa_user_sgpr_count 2
		.amdhsa_user_sgpr_dispatch_ptr 0
		.amdhsa_user_sgpr_queue_ptr 0
		.amdhsa_user_sgpr_kernarg_segment_ptr 1
		.amdhsa_user_sgpr_dispatch_id 0
		.amdhsa_user_sgpr_kernarg_preload_length 0
		.amdhsa_user_sgpr_kernarg_preload_offset 0
		.amdhsa_user_sgpr_private_segment_size 0
		.amdhsa_uses_dynamic_stack 0
		.amdhsa_enable_private_segment 0
		.amdhsa_system_sgpr_workgroup_id_x 1
		.amdhsa_system_sgpr_workgroup_id_y 0
		.amdhsa_system_sgpr_workgroup_id_z 0
		.amdhsa_system_sgpr_workgroup_info 0
		.amdhsa_system_vgpr_workitem_id 0
		.amdhsa_next_free_vgpr 40
		.amdhsa_next_free_sgpr 28
		.amdhsa_accum_offset 40
		.amdhsa_reserve_vcc 1
		.amdhsa_float_round_mode_32 0
		.amdhsa_float_round_mode_16_64 0
		.amdhsa_float_denorm_mode_32 3
		.amdhsa_float_denorm_mode_16_64 3
		.amdhsa_dx10_clamp 1
		.amdhsa_ieee_mode 1
		.amdhsa_fp16_overflow 0
		.amdhsa_tg_split 0
		.amdhsa_exception_fp_ieee_invalid_op 0
		.amdhsa_exception_fp_denorm_src 0
		.amdhsa_exception_fp_ieee_div_zero 0
		.amdhsa_exception_fp_ieee_overflow 0
		.amdhsa_exception_fp_ieee_underflow 0
		.amdhsa_exception_fp_ieee_inexact 0
		.amdhsa_exception_int_div_zero 0
	.end_amdhsa_kernel
	.section	.text._Z19kPercentileClippingIfLi2048ELi4EEvPT_Pfii,"axG",@progbits,_Z19kPercentileClippingIfLi2048ELi4EEvPT_Pfii,comdat
.Lfunc_end94:
	.size	_Z19kPercentileClippingIfLi2048ELi4EEvPT_Pfii, .Lfunc_end94-_Z19kPercentileClippingIfLi2048ELi4EEvPT_Pfii
                                        ; -- End function
	.section	.AMDGPU.csdata,"",@progbits
; Kernel info:
; codeLenInByte = 3484
; NumSgprs: 34
; NumVgprs: 40
; NumAgprs: 0
; TotalNumVgprs: 40
; ScratchSize: 0
; MemoryBound: 0
; FloatMode: 240
; IeeeMode: 1
; LDSByteSize: 8480 bytes/workgroup (compile time only)
; SGPRBlocks: 4
; VGPRBlocks: 4
; NumSGPRsForWavesPerEU: 34
; NumVGPRsForWavesPerEU: 40
; AccumOffset: 40
; Occupancy: 8
; WaveLimiterHint : 0
; COMPUTE_PGM_RSRC2:SCRATCH_EN: 0
; COMPUTE_PGM_RSRC2:USER_SGPR: 2
; COMPUTE_PGM_RSRC2:TRAP_HANDLER: 0
; COMPUTE_PGM_RSRC2:TGID_X_EN: 1
; COMPUTE_PGM_RSRC2:TGID_Y_EN: 0
; COMPUTE_PGM_RSRC2:TGID_Z_EN: 0
; COMPUTE_PGM_RSRC2:TIDIG_COMP_CNT: 0
; COMPUTE_PGM_RSRC3_GFX90A:ACCUM_OFFSET: 9
; COMPUTE_PGM_RSRC3_GFX90A:TG_SPLIT: 0
	.section	.text._Z19kPercentileClippingI6__halfLi2048ELi4EEvPT_Pfii,"axG",@progbits,_Z19kPercentileClippingI6__halfLi2048ELi4EEvPT_Pfii,comdat
